;; amdgpu-corpus repo=ROCm/rocFFT kind=compiled arch=gfx1201 opt=O3
	.text
	.amdgcn_target "amdgcn-amd-amdhsa--gfx1201"
	.amdhsa_code_object_version 6
	.protected	fft_rtc_fwd_len800_factors_16_5_10_wgs_160_tpt_160_halfLds_sp_op_CI_CI_sbrr_dirReg ; -- Begin function fft_rtc_fwd_len800_factors_16_5_10_wgs_160_tpt_160_halfLds_sp_op_CI_CI_sbrr_dirReg
	.globl	fft_rtc_fwd_len800_factors_16_5_10_wgs_160_tpt_160_halfLds_sp_op_CI_CI_sbrr_dirReg
	.p2align	8
	.type	fft_rtc_fwd_len800_factors_16_5_10_wgs_160_tpt_160_halfLds_sp_op_CI_CI_sbrr_dirReg,@function
fft_rtc_fwd_len800_factors_16_5_10_wgs_160_tpt_160_halfLds_sp_op_CI_CI_sbrr_dirReg: ; @fft_rtc_fwd_len800_factors_16_5_10_wgs_160_tpt_160_halfLds_sp_op_CI_CI_sbrr_dirReg
; %bb.0:
	s_clause 0x2
	s_load_b128 s[12:15], s[0:1], 0x18
	s_load_b128 s[8:11], s[0:1], 0x0
	;; [unrolled: 1-line block ×3, first 2 shown]
	v_mul_u32_u24_e32 v1, 0x19a, v0
	v_mov_b32_e32 v7, 0
	v_mov_b32_e32 v5, 0
	;; [unrolled: 1-line block ×3, first 2 shown]
	s_wait_kmcnt 0x0
	s_load_b64 s[18:19], s[12:13], 0x0
	s_load_b64 s[16:17], s[14:15], 0x0
	v_lshrrev_b32_e32 v1, 16, v1
	v_cmp_lt_u64_e64 s2, s[10:11], 2
	s_delay_alu instid0(VALU_DEP_2) | instskip(NEXT) | instid1(VALU_DEP_2)
	v_dual_mov_b32 v10, v7 :: v_dual_add_nc_u32 v9, ttmp9, v1
	s_and_b32 vcc_lo, exec_lo, s2
	s_cbranch_vccnz .LBB0_8
; %bb.1:
	s_load_b64 s[2:3], s[0:1], 0x10
	v_mov_b32_e32 v5, 0
	v_mov_b32_e32 v6, 0
	s_delay_alu instid0(VALU_DEP_2)
	v_mov_b32_e32 v1, v5
	s_add_nc_u64 s[20:21], s[14:15], 8
	s_add_nc_u64 s[22:23], s[12:13], 8
	s_mov_b64 s[24:25], 1
	v_mov_b32_e32 v2, v6
	s_wait_kmcnt 0x0
	s_add_nc_u64 s[26:27], s[2:3], 8
	s_mov_b32 s3, 0
.LBB0_2:                                ; =>This Inner Loop Header: Depth=1
	s_load_b64 s[28:29], s[26:27], 0x0
                                        ; implicit-def: $vgpr3_vgpr4
	s_mov_b32 s2, exec_lo
	s_wait_kmcnt 0x0
	v_or_b32_e32 v8, s29, v10
	s_delay_alu instid0(VALU_DEP_1)
	v_cmpx_ne_u64_e32 0, v[7:8]
	s_wait_alu 0xfffe
	s_xor_b32 s30, exec_lo, s2
	s_cbranch_execz .LBB0_4
; %bb.3:                                ;   in Loop: Header=BB0_2 Depth=1
	s_cvt_f32_u32 s2, s28
	s_cvt_f32_u32 s31, s29
	s_sub_nc_u64 s[36:37], 0, s[28:29]
	s_wait_alu 0xfffe
	s_delay_alu instid0(SALU_CYCLE_1) | instskip(SKIP_1) | instid1(SALU_CYCLE_2)
	s_fmamk_f32 s2, s31, 0x4f800000, s2
	s_wait_alu 0xfffe
	v_s_rcp_f32 s2, s2
	s_delay_alu instid0(TRANS32_DEP_1) | instskip(SKIP_1) | instid1(SALU_CYCLE_2)
	s_mul_f32 s2, s2, 0x5f7ffffc
	s_wait_alu 0xfffe
	s_mul_f32 s31, s2, 0x2f800000
	s_wait_alu 0xfffe
	s_delay_alu instid0(SALU_CYCLE_2) | instskip(SKIP_1) | instid1(SALU_CYCLE_2)
	s_trunc_f32 s31, s31
	s_wait_alu 0xfffe
	s_fmamk_f32 s2, s31, 0xcf800000, s2
	s_cvt_u32_f32 s35, s31
	s_wait_alu 0xfffe
	s_delay_alu instid0(SALU_CYCLE_1) | instskip(SKIP_1) | instid1(SALU_CYCLE_2)
	s_cvt_u32_f32 s34, s2
	s_wait_alu 0xfffe
	s_mul_u64 s[38:39], s[36:37], s[34:35]
	s_wait_alu 0xfffe
	s_mul_hi_u32 s41, s34, s39
	s_mul_i32 s40, s34, s39
	s_mul_hi_u32 s2, s34, s38
	s_mul_i32 s33, s35, s38
	s_wait_alu 0xfffe
	s_add_nc_u64 s[40:41], s[2:3], s[40:41]
	s_mul_hi_u32 s31, s35, s38
	s_mul_hi_u32 s42, s35, s39
	s_add_co_u32 s2, s40, s33
	s_wait_alu 0xfffe
	s_add_co_ci_u32 s2, s41, s31
	s_mul_i32 s38, s35, s39
	s_add_co_ci_u32 s39, s42, 0
	s_wait_alu 0xfffe
	s_add_nc_u64 s[38:39], s[2:3], s[38:39]
	s_wait_alu 0xfffe
	v_add_co_u32 v3, s2, s34, s38
	s_delay_alu instid0(VALU_DEP_1) | instskip(SKIP_1) | instid1(VALU_DEP_1)
	s_cmp_lg_u32 s2, 0
	s_add_co_ci_u32 s35, s35, s39
	v_readfirstlane_b32 s34, v3
	s_wait_alu 0xfffe
	s_delay_alu instid0(VALU_DEP_1)
	s_mul_u64 s[36:37], s[36:37], s[34:35]
	s_wait_alu 0xfffe
	s_mul_hi_u32 s39, s34, s37
	s_mul_i32 s38, s34, s37
	s_mul_hi_u32 s2, s34, s36
	s_mul_i32 s33, s35, s36
	s_wait_alu 0xfffe
	s_add_nc_u64 s[38:39], s[2:3], s[38:39]
	s_mul_hi_u32 s31, s35, s36
	s_mul_hi_u32 s34, s35, s37
	s_wait_alu 0xfffe
	s_add_co_u32 s2, s38, s33
	s_add_co_ci_u32 s2, s39, s31
	s_mul_i32 s36, s35, s37
	s_add_co_ci_u32 s37, s34, 0
	s_wait_alu 0xfffe
	s_add_nc_u64 s[36:37], s[2:3], s[36:37]
	s_wait_alu 0xfffe
	v_add_co_u32 v8, s2, v3, s36
	s_delay_alu instid0(VALU_DEP_1) | instskip(SKIP_1) | instid1(VALU_DEP_1)
	s_cmp_lg_u32 s2, 0
	s_add_co_ci_u32 s2, s35, s37
	v_mul_hi_u32 v15, v9, v8
	s_wait_alu 0xfffe
	v_mad_co_u64_u32 v[3:4], null, v9, s2, 0
	v_mad_co_u64_u32 v[11:12], null, v10, v8, 0
	;; [unrolled: 1-line block ×3, first 2 shown]
	s_delay_alu instid0(VALU_DEP_3) | instskip(SKIP_1) | instid1(VALU_DEP_4)
	v_add_co_u32 v3, vcc_lo, v15, v3
	s_wait_alu 0xfffd
	v_add_co_ci_u32_e32 v4, vcc_lo, 0, v4, vcc_lo
	s_delay_alu instid0(VALU_DEP_2) | instskip(SKIP_1) | instid1(VALU_DEP_2)
	v_add_co_u32 v3, vcc_lo, v3, v11
	s_wait_alu 0xfffd
	v_add_co_ci_u32_e32 v3, vcc_lo, v4, v12, vcc_lo
	s_wait_alu 0xfffd
	v_add_co_ci_u32_e32 v4, vcc_lo, 0, v14, vcc_lo
	s_delay_alu instid0(VALU_DEP_2) | instskip(SKIP_1) | instid1(VALU_DEP_2)
	v_add_co_u32 v8, vcc_lo, v3, v13
	s_wait_alu 0xfffd
	v_add_co_ci_u32_e32 v11, vcc_lo, 0, v4, vcc_lo
	s_delay_alu instid0(VALU_DEP_2) | instskip(SKIP_1) | instid1(VALU_DEP_3)
	v_mul_lo_u32 v12, s29, v8
	v_mad_co_u64_u32 v[3:4], null, s28, v8, 0
	v_mul_lo_u32 v13, s28, v11
	s_delay_alu instid0(VALU_DEP_2) | instskip(NEXT) | instid1(VALU_DEP_2)
	v_sub_co_u32 v3, vcc_lo, v9, v3
	v_add3_u32 v4, v4, v13, v12
	s_delay_alu instid0(VALU_DEP_1) | instskip(SKIP_1) | instid1(VALU_DEP_1)
	v_sub_nc_u32_e32 v12, v10, v4
	s_wait_alu 0xfffd
	v_subrev_co_ci_u32_e64 v12, s2, s29, v12, vcc_lo
	v_add_co_u32 v13, s2, v8, 2
	s_wait_alu 0xf1ff
	v_add_co_ci_u32_e64 v14, s2, 0, v11, s2
	v_sub_co_u32 v15, s2, v3, s28
	v_sub_co_ci_u32_e32 v4, vcc_lo, v10, v4, vcc_lo
	s_wait_alu 0xf1ff
	v_subrev_co_ci_u32_e64 v12, s2, 0, v12, s2
	s_delay_alu instid0(VALU_DEP_3) | instskip(NEXT) | instid1(VALU_DEP_3)
	v_cmp_le_u32_e32 vcc_lo, s28, v15
	v_cmp_eq_u32_e64 s2, s29, v4
	s_wait_alu 0xfffd
	v_cndmask_b32_e64 v15, 0, -1, vcc_lo
	v_cmp_le_u32_e32 vcc_lo, s29, v12
	s_wait_alu 0xfffd
	v_cndmask_b32_e64 v16, 0, -1, vcc_lo
	v_cmp_le_u32_e32 vcc_lo, s28, v3
	;; [unrolled: 3-line block ×3, first 2 shown]
	s_wait_alu 0xfffd
	v_cndmask_b32_e64 v17, 0, -1, vcc_lo
	v_cmp_eq_u32_e32 vcc_lo, s29, v12
	s_wait_alu 0xf1ff
	s_delay_alu instid0(VALU_DEP_2)
	v_cndmask_b32_e64 v3, v17, v3, s2
	s_wait_alu 0xfffd
	v_cndmask_b32_e32 v12, v16, v15, vcc_lo
	v_add_co_u32 v15, vcc_lo, v8, 1
	s_wait_alu 0xfffd
	v_add_co_ci_u32_e32 v16, vcc_lo, 0, v11, vcc_lo
	s_delay_alu instid0(VALU_DEP_3) | instskip(SKIP_1) | instid1(VALU_DEP_2)
	v_cmp_ne_u32_e32 vcc_lo, 0, v12
	s_wait_alu 0xfffd
	v_cndmask_b32_e32 v4, v16, v14, vcc_lo
	v_cndmask_b32_e32 v12, v15, v13, vcc_lo
	v_cmp_ne_u32_e32 vcc_lo, 0, v3
	s_wait_alu 0xfffd
	s_delay_alu instid0(VALU_DEP_3) | instskip(NEXT) | instid1(VALU_DEP_3)
	v_cndmask_b32_e32 v4, v11, v4, vcc_lo
	v_cndmask_b32_e32 v3, v8, v12, vcc_lo
.LBB0_4:                                ;   in Loop: Header=BB0_2 Depth=1
	s_wait_alu 0xfffe
	s_and_not1_saveexec_b32 s2, s30
	s_cbranch_execz .LBB0_6
; %bb.5:                                ;   in Loop: Header=BB0_2 Depth=1
	v_cvt_f32_u32_e32 v3, s28
	s_sub_co_i32 s30, 0, s28
	s_delay_alu instid0(VALU_DEP_1) | instskip(NEXT) | instid1(TRANS32_DEP_1)
	v_rcp_iflag_f32_e32 v3, v3
	v_mul_f32_e32 v3, 0x4f7ffffe, v3
	s_delay_alu instid0(VALU_DEP_1) | instskip(SKIP_1) | instid1(VALU_DEP_1)
	v_cvt_u32_f32_e32 v3, v3
	s_wait_alu 0xfffe
	v_mul_lo_u32 v4, s30, v3
	s_delay_alu instid0(VALU_DEP_1) | instskip(NEXT) | instid1(VALU_DEP_1)
	v_mul_hi_u32 v4, v3, v4
	v_add_nc_u32_e32 v3, v3, v4
	s_delay_alu instid0(VALU_DEP_1) | instskip(NEXT) | instid1(VALU_DEP_1)
	v_mul_hi_u32 v3, v9, v3
	v_mul_lo_u32 v4, v3, s28
	v_add_nc_u32_e32 v8, 1, v3
	s_delay_alu instid0(VALU_DEP_2) | instskip(NEXT) | instid1(VALU_DEP_1)
	v_sub_nc_u32_e32 v4, v9, v4
	v_subrev_nc_u32_e32 v11, s28, v4
	v_cmp_le_u32_e32 vcc_lo, s28, v4
	s_wait_alu 0xfffd
	s_delay_alu instid0(VALU_DEP_2) | instskip(NEXT) | instid1(VALU_DEP_1)
	v_dual_cndmask_b32 v4, v4, v11 :: v_dual_cndmask_b32 v3, v3, v8
	v_cmp_le_u32_e32 vcc_lo, s28, v4
	s_delay_alu instid0(VALU_DEP_2) | instskip(SKIP_2) | instid1(VALU_DEP_2)
	v_add_nc_u32_e32 v8, 1, v3
	v_mov_b32_e32 v4, v7
	s_wait_alu 0xfffd
	v_cndmask_b32_e32 v3, v3, v8, vcc_lo
.LBB0_6:                                ;   in Loop: Header=BB0_2 Depth=1
	s_wait_alu 0xfffe
	s_or_b32 exec_lo, exec_lo, s2
	v_mul_lo_u32 v8, v4, s28
	s_delay_alu instid0(VALU_DEP_2)
	v_mul_lo_u32 v13, v3, s29
	s_load_b64 s[30:31], s[22:23], 0x0
	v_mad_co_u64_u32 v[11:12], null, v3, s28, 0
	s_load_b64 s[28:29], s[20:21], 0x0
	s_add_nc_u64 s[24:25], s[24:25], 1
	s_add_nc_u64 s[20:21], s[20:21], 8
	s_wait_alu 0xfffe
	v_cmp_ge_u64_e64 s2, s[24:25], s[10:11]
	s_add_nc_u64 s[22:23], s[22:23], 8
	s_add_nc_u64 s[26:27], s[26:27], 8
	v_add3_u32 v8, v12, v13, v8
	v_sub_co_u32 v9, vcc_lo, v9, v11
	s_wait_alu 0xfffd
	s_delay_alu instid0(VALU_DEP_2) | instskip(SKIP_2) | instid1(VALU_DEP_1)
	v_sub_co_ci_u32_e32 v8, vcc_lo, v10, v8, vcc_lo
	s_and_b32 vcc_lo, exec_lo, s2
	s_wait_kmcnt 0x0
	v_mul_lo_u32 v10, s30, v8
	v_mul_lo_u32 v11, s31, v9
	v_mad_co_u64_u32 v[5:6], null, s30, v9, v[5:6]
	v_mul_lo_u32 v8, s28, v8
	v_mul_lo_u32 v12, s29, v9
	v_mad_co_u64_u32 v[1:2], null, s28, v9, v[1:2]
	s_delay_alu instid0(VALU_DEP_4) | instskip(NEXT) | instid1(VALU_DEP_2)
	v_add3_u32 v6, v11, v6, v10
	v_add3_u32 v2, v12, v2, v8
	s_wait_alu 0xfffe
	s_cbranch_vccnz .LBB0_9
; %bb.7:                                ;   in Loop: Header=BB0_2 Depth=1
	v_dual_mov_b32 v10, v4 :: v_dual_mov_b32 v9, v3
	s_branch .LBB0_2
.LBB0_8:
	v_dual_mov_b32 v1, v5 :: v_dual_mov_b32 v2, v6
	s_delay_alu instid0(VALU_DEP_2)
	v_dual_mov_b32 v3, v9 :: v_dual_mov_b32 v4, v10
.LBB0_9:
	s_load_b64 s[2:3], s[0:1], 0x28
	v_mul_hi_u32 v7, 0x199999a, v0
	v_dual_mov_b32 v11, 0 :: v_dual_mov_b32 v10, 0
	v_dual_mov_b32 v15, 0 :: v_dual_mov_b32 v14, 0
	;; [unrolled: 1-line block ×3, first 2 shown]
	v_mov_b32_e32 v8, 0
	v_mul_u32_u24_e32 v9, 0xa0, v7
	v_mov_b32_e32 v7, 0
	v_dual_mov_b32 v13, 0 :: v_dual_mov_b32 v12, 0
	v_dual_mov_b32 v23, 0 :: v_dual_mov_b32 v22, 0
	s_delay_alu instid0(VALU_DEP_4)
	v_sub_nc_u32_e32 v0, v0, v9
	v_dual_mov_b32 v24, 0 :: v_dual_mov_b32 v21, 0
	v_dual_mov_b32 v25, 0 :: v_dual_mov_b32 v20, 0
	s_wait_kmcnt 0x0
	v_cmp_gt_u64_e32 vcc_lo, s[2:3], v[3:4]
	v_cmp_gt_u32_e64 s0, 50, v0
	v_add_nc_u32_e32 v40, 0x190, v0
	s_lshl_b64 s[2:3], s[10:11], 3
                                        ; implicit-def: $vgpr17
                                        ; implicit-def: $vgpr29
                                        ; implicit-def: $vgpr35
                                        ; implicit-def: $vgpr27
                                        ; implicit-def: $vgpr39
                                        ; implicit-def: $vgpr33
                                        ; implicit-def: $vgpr37
                                        ; implicit-def: $vgpr31
	s_delay_alu instid0(VALU_DEP_2)
	s_and_b32 s1, vcc_lo, s0
	s_wait_alu 0xfffe
	s_and_saveexec_b32 s10, s1
	s_cbranch_execz .LBB0_11
; %bb.10:
	s_add_nc_u64 s[12:13], s[12:13], s[2:3]
	v_add_nc_u32_e32 v20, 50, v0
	s_load_b64 s[12:13], s[12:13], 0x0
	v_mad_co_u64_u32 v[7:8], null, s18, v0, 0
	v_add_nc_u32_e32 v22, 0x64, v0
	s_delay_alu instid0(VALU_DEP_3) | instskip(SKIP_2) | instid1(VALU_DEP_4)
	v_mad_co_u64_u32 v[9:10], null, s18, v20, 0
	v_add_nc_u32_e32 v23, 0x96, v0
	v_add_nc_u32_e32 v24, 0xc8, v0
	v_mad_co_u64_u32 v[11:12], null, s18, v22, 0
	v_lshlrev_b64_e32 v[5:6], 3, v[5:6]
	v_add_nc_u32_e32 v26, 0x12c, v0
	v_mad_co_u64_u32 v[17:18], null, s19, v0, v[8:9]
	v_mov_b32_e32 v8, v10
	v_mad_co_u64_u32 v[13:14], null, s18, v23, 0
	v_mov_b32_e32 v10, v12
	v_mad_co_u64_u32 v[18:19], null, s18, v24, 0
	s_wait_kmcnt 0x0
	v_mul_lo_u32 v21, s13, v3
	v_mul_lo_u32 v25, s12, v4
	v_mad_co_u64_u32 v[15:16], null, s12, v3, 0
	v_dual_mov_b32 v12, v14 :: v_dual_add_nc_u32 v29, 0x15e, v0
	v_add_nc_u32_e32 v44, 0x2ee, v0
	v_add_nc_u32_e32 v37, 0x258, v0
	;; [unrolled: 1-line block ×3, first 2 shown]
	v_add3_u32 v16, v16, v25, v21
	v_mad_co_u64_u32 v[20:21], null, s19, v20, v[8:9]
	v_dual_mov_b32 v8, v17 :: v_dual_add_nc_u32 v25, 0xfa, v0
	s_delay_alu instid0(VALU_DEP_3) | instskip(SKIP_3) | instid1(VALU_DEP_4)
	v_lshlrev_b64_e32 v[14:15], 3, v[15:16]
	v_mad_co_u64_u32 v[21:22], null, s19, v22, v[10:11]
	v_mad_co_u64_u32 v[16:17], null, s19, v23, v[12:13]
	v_mov_b32_e32 v10, v20
	v_add_co_u32 v14, s1, s4, v14
	s_wait_alu 0xf1ff
	v_add_co_ci_u32_e64 v15, s1, s5, v15, s1
	v_mov_b32_e32 v12, v21
	s_delay_alu instid0(VALU_DEP_3)
	v_add_co_u32 v39, s1, v14, v5
	v_mov_b32_e32 v14, v16
	v_lshlrev_b64_e32 v[7:8], 3, v[7:8]
	s_wait_alu 0xf1ff
	v_add_co_ci_u32_e64 v45, s1, v15, v6, s1
	v_lshlrev_b64_e32 v[5:6], 3, v[9:10]
	v_lshlrev_b64_e32 v[9:10], 3, v[11:12]
	;; [unrolled: 1-line block ×3, first 2 shown]
	v_mov_b32_e32 v11, v19
	v_add_co_u32 v7, s1, v39, v7
	v_mad_co_u64_u32 v[16:17], null, s18, v25, 0
	v_mad_co_u64_u32 v[20:21], null, s18, v26, 0
	s_delay_alu instid0(VALU_DEP_4)
	v_mad_co_u64_u32 v[14:15], null, s19, v24, v[11:12]
	s_wait_alu 0xf1ff
	v_add_co_ci_u32_e64 v8, s1, v45, v8, s1
	v_add_co_u32 v5, s1, v39, v5
	s_wait_alu 0xf1ff
	v_add_co_ci_u32_e64 v6, s1, v45, v6, s1
	v_add_co_u32 v22, s1, v39, v9
	s_wait_alu 0xf1ff
	v_add_co_ci_u32_e64 v23, s1, v45, v10, s1
	v_dual_mov_b32 v9, v17 :: v_dual_mov_b32 v10, v21
	v_mov_b32_e32 v19, v14
	v_add_co_u32 v12, s1, v39, v12
	s_wait_alu 0xf1ff
	v_add_co_ci_u32_e64 v13, s1, v45, v13, s1
	v_mad_co_u64_u32 v[24:25], null, s19, v25, v[9:10]
	v_mad_co_u64_u32 v[9:10], null, s19, v26, v[10:11]
	v_lshlrev_b64_e32 v[27:28], 3, v[18:19]
	s_clause 0x3
	global_load_b64 v[10:11], v[7:8], off
	global_load_b64 v[14:15], v[5:6], off
	;; [unrolled: 1-line block ×4, first 2 shown]
	v_mad_co_u64_u32 v[25:26], null, s18, v29, 0
	v_dual_mov_b32 v17, v24 :: v_dual_add_nc_u32 v24, 0x1c2, v0
	v_add_co_u32 v12, s1, v39, v27
	s_wait_alu 0xf1ff
	v_add_co_ci_u32_e64 v13, s1, v45, v28, s1
	s_delay_alu instid0(VALU_DEP_4) | instskip(SKIP_3) | instid1(VALU_DEP_4)
	v_mov_b32_e32 v5, v26
	v_mad_co_u64_u32 v[27:28], null, s18, v40, 0
	v_mov_b32_e32 v21, v9
	v_lshlrev_b64_e32 v[16:17], 3, v[16:17]
	v_mad_co_u64_u32 v[5:6], null, s19, v29, v[5:6]
	v_mad_co_u64_u32 v[29:30], null, s18, v24, 0
	v_mov_b32_e32 v9, v28
	v_lshlrev_b64_e32 v[20:21], 3, v[20:21]
	v_add_co_u32 v16, s1, v39, v16
	v_mov_b32_e32 v26, v5
	s_wait_alu 0xf1ff
	v_add_co_ci_u32_e64 v17, s1, v45, v17, s1
	s_delay_alu instid0(VALU_DEP_4)
	v_add_co_u32 v5, s1, v39, v20
	s_wait_alu 0xf1ff
	v_add_co_ci_u32_e64 v6, s1, v45, v21, s1
	v_mad_co_u64_u32 v[35:36], null, s18, v41, 0
	s_wait_loadcnt 0x3
	v_mad_co_u64_u32 v[22:23], null, s19, v40, v[9:10]
	v_mov_b32_e32 v9, v30
	s_delay_alu instid0(VALU_DEP_1)
	v_mad_co_u64_u32 v[33:34], null, s19, v24, v[9:10]
	v_add_nc_u32_e32 v9, 0x226, v0
	v_lshlrev_b64_e32 v[20:21], 3, v[25:26]
	v_add_nc_u32_e32 v26, 0x1f4, v0
	v_mov_b32_e32 v28, v22
	v_mov_b32_e32 v30, v33
	s_delay_alu instid0(VALU_DEP_3)
	v_mad_co_u64_u32 v[31:32], null, s18, v26, 0
	v_add_co_u32 v20, s1, v39, v20
	s_wait_alu 0xf1ff
	v_add_co_ci_u32_e64 v21, s1, v45, v21, s1
	s_clause 0x3
	global_load_b64 v[12:13], v[12:13], off
	global_load_b64 v[22:23], v[16:17], off
	;; [unrolled: 1-line block ×4, first 2 shown]
	v_lshlrev_b64_e32 v[16:17], 3, v[27:28]
	v_mov_b32_e32 v5, v32
	v_mad_co_u64_u32 v[33:34], null, s18, v37, 0
	v_lshlrev_b64_e32 v[28:29], 3, v[29:30]
	s_delay_alu instid0(VALU_DEP_3) | instskip(SKIP_4) | instid1(VALU_DEP_4)
	v_mad_co_u64_u32 v[5:6], null, s19, v26, v[5:6]
	v_mad_co_u64_u32 v[26:27], null, s18, v9, 0
	v_add_co_u32 v16, s1, v39, v16
	s_wait_alu 0xf1ff
	v_add_co_ci_u32_e64 v17, s1, v45, v17, s1
	v_mov_b32_e32 v32, v5
	v_add_co_u32 v28, s1, v39, v28
	v_mov_b32_e32 v5, v27
	s_wait_alu 0xf1ff
	v_add_co_ci_u32_e64 v29, s1, v45, v29, s1
	s_delay_alu instid0(VALU_DEP_2) | instskip(SKIP_2) | instid1(VALU_DEP_3)
	v_mad_co_u64_u32 v[5:6], null, s19, v9, v[5:6]
	v_dual_mov_b32 v6, v34 :: v_dual_add_nc_u32 v9, 0x2bc, v0
	v_lshlrev_b64_e32 v[30:31], 3, v[31:32]
	v_mov_b32_e32 v27, v5
	s_wait_loadcnt 0x4
	s_delay_alu instid0(VALU_DEP_3)
	v_mad_co_u64_u32 v[5:6], null, s19, v37, v[6:7]
	v_mad_co_u64_u32 v[37:38], null, s18, v9, 0
	v_mov_b32_e32 v6, v36
	v_lshlrev_b64_e32 v[26:27], 3, v[26:27]
	v_add_co_u32 v30, s1, v39, v30
	v_mov_b32_e32 v34, v5
	s_delay_alu instid0(VALU_DEP_4) | instskip(SKIP_2) | instid1(VALU_DEP_4)
	v_mad_co_u64_u32 v[41:42], null, s19, v41, v[6:7]
	v_mad_co_u64_u32 v[42:43], null, s18, v44, 0
	v_mov_b32_e32 v6, v38
	v_lshlrev_b64_e32 v[32:33], 3, v[33:34]
	s_wait_alu 0xf1ff
	v_add_co_ci_u32_e64 v31, s1, v45, v31, s1
	v_mov_b32_e32 v36, v41
	v_mad_co_u64_u32 v[5:6], null, s19, v9, v[6:7]
	v_mov_b32_e32 v6, v43
	v_add_co_u32 v26, s1, v39, v26
	s_delay_alu instid0(VALU_DEP_4)
	v_lshlrev_b64_e32 v[34:35], 3, v[35:36]
	s_wait_alu 0xf1ff
	v_add_co_ci_u32_e64 v27, s1, v45, v27, s1
	v_mad_co_u64_u32 v[43:44], null, s19, v44, v[6:7]
	v_mov_b32_e32 v38, v5
	v_add_co_u32 v5, s1, v39, v32
	s_wait_alu 0xf1ff
	v_add_co_ci_u32_e64 v6, s1, v45, v33, s1
	s_delay_alu instid0(VALU_DEP_3) | instskip(SKIP_4) | instid1(VALU_DEP_4)
	v_lshlrev_b64_e32 v[32:33], 3, v[37:38]
	v_add_co_u32 v36, s1, v39, v34
	s_wait_alu 0xf1ff
	v_add_co_ci_u32_e64 v37, s1, v45, v35, s1
	v_lshlrev_b64_e32 v[34:35], 3, v[42:43]
	v_add_co_u32 v41, s1, v39, v32
	s_wait_alu 0xf1ff
	v_add_co_ci_u32_e64 v42, s1, v45, v33, s1
	s_delay_alu instid0(VALU_DEP_3)
	v_add_co_u32 v43, s1, v39, v34
	s_wait_alu 0xf1ff
	v_add_co_ci_u32_e64 v44, s1, v45, v35, s1
	s_clause 0x7
	global_load_b64 v[16:17], v[16:17], off
	global_load_b64 v[28:29], v[28:29], off
	;; [unrolled: 1-line block ×8, first 2 shown]
.LBB0_11:
	s_wait_alu 0xfffe
	s_or_b32 exec_lo, exec_lo, s10
	s_wait_loadcnt 0x3
	v_dual_sub_f32 v5, v10, v16 :: v_dual_sub_f32 v16, v12, v38
	v_dual_sub_f32 v6, v18, v34 :: v_dual_sub_f32 v9, v19, v35
	s_wait_loadcnt 0x0
	v_dual_sub_f32 v34, v24, v36 :: v_dual_sub_f32 v31, v21, v31
	v_sub_f32_e32 v38, v13, v39
	v_fma_f32 v35, v12, 2.0, -v16
	v_dual_sub_f32 v36, v25, v37 :: v_dual_sub_f32 v39, v8, v27
	v_fma_f32 v12, v19, 2.0, -v9
	v_fma_f32 v19, v24, 2.0, -v34
	v_sub_f32_e32 v24, v14, v28
	v_fma_f32 v10, v10, 2.0, -v5
	v_dual_sub_f32 v28, v15, v29 :: v_dual_sub_f32 v29, v22, v32
	v_sub_f32_e32 v32, v23, v33
	s_delay_alu instid0(VALU_DEP_4)
	v_fma_f32 v33, v14, 2.0, -v24
	v_sub_f32_e32 v30, v20, v30
	v_fma_f32 v8, v8, 2.0, -v39
	v_fma_f32 v21, v21, 2.0, -v31
	v_sub_f32_e32 v14, v5, v38
	v_fma_f32 v18, v18, 2.0, -v6
	v_fma_f32 v27, v20, 2.0, -v30
	s_delay_alu instid0(VALU_DEP_4) | instskip(NEXT) | instid1(VALU_DEP_4)
	v_dual_sub_f32 v26, v7, v26 :: v_dual_sub_f32 v49, v8, v21
	v_fma_f32 v5, v5, 2.0, -v14
	v_add_f32_e32 v34, v9, v34
	v_fma_f32 v25, v25, 2.0, -v36
	s_delay_alu instid0(VALU_DEP_4)
	v_fma_f32 v41, v7, 2.0, -v26
	v_fma_f32 v37, v22, 2.0, -v29
	v_sub_f32_e32 v7, v10, v35
	v_fma_f32 v9, v9, 2.0, -v34
	v_sub_f32_e32 v20, v18, v19
	v_sub_f32_e32 v19, v6, v36
	;; [unrolled: 1-line block ×3, first 2 shown]
	v_fma_f32 v15, v15, 2.0, -v28
	v_fma_f32 v23, v23, 2.0, -v32
	;; [unrolled: 1-line block ×4, first 2 shown]
	v_sub_f32_e32 v22, v12, v25
	v_sub_f32_e32 v36, v33, v37
	v_fma_f32 v25, v41, 2.0, -v35
	v_sub_f32_e32 v37, v15, v23
	v_mul_f32_e32 v21, 0x3f3504f3, v6
	v_dual_fmamk_f32 v41, v6, 0xbf3504f3, v5 :: v_dual_sub_f32 v42, v24, v32
	v_dual_mul_f32 v23, 0x3f3504f3, v19 :: v_dual_add_f32 v48, v28, v29
	v_fmamk_f32 v47, v19, 0x3f3504f3, v14
	v_fma_f32 v29, v33, 2.0, -v36
	v_sub_f32_e32 v31, v26, v31
	v_fmac_f32_e32 v41, 0xbf3504f3, v9
	v_fma_f32 v18, v18, 2.0, -v20
	v_fma_f32 v27, v15, 2.0, -v37
	;; [unrolled: 1-line block ×3, first 2 shown]
	v_dual_add_f32 v50, v39, v30 :: v_dual_sub_f32 v25, v29, v25
	s_delay_alu instid0(VALU_DEP_4) | instskip(SKIP_2) | instid1(VALU_DEP_4)
	v_sub_f32_e32 v43, v10, v18
	v_fma_f32 v18, v26, 2.0, -v31
	v_fma_f32 v28, v28, 2.0, -v48
	;; [unrolled: 1-line block ×6, first 2 shown]
	v_fmamk_f32 v26, v18, 0xbf3504f3, v15
	v_mul_f32_e32 v32, 0x3f3504f3, v34
	v_dual_fmamk_f32 v30, v33, 0xbf3504f3, v28 :: v_dual_fmac_f32 v47, 0xbf3504f3, v34
	s_delay_alu instid0(VALU_DEP_4) | instskip(NEXT) | instid1(VALU_DEP_4)
	v_sub_f32_e32 v5, v44, v5
	v_fmac_f32_e32 v26, 0xbf3504f3, v33
	v_fmamk_f32 v33, v31, 0x3f3504f3, v42
	v_fma_f32 v8, v8, 2.0, -v49
	v_mul_f32_e32 v24, 0x3f3504f3, v9
	v_dual_sub_f32 v46, v7, v22 :: v_dual_sub_f32 v9, v36, v49
	s_delay_alu instid0(VALU_DEP_4) | instskip(SKIP_3) | instid1(VALU_DEP_4)
	v_dual_fmac_f32 v33, 0xbf3504f3, v50 :: v_dual_add_f32 v10, v37, v35
	v_fma_f32 v29, v15, 2.0, -v26
	v_fmamk_f32 v15, v26, 0x3ec3ef15, v41
	v_dual_sub_f32 v39, v27, v8 :: v_dual_fmamk_f32 v34, v50, 0x3f3504f3, v48
	v_fma_f32 v37, v37, 2.0, -v10
	v_fmac_f32_e32 v30, 0x3f3504f3, v18
	v_fma_f32 v8, v36, 2.0, -v9
	v_fmamk_f32 v6, v29, 0xbf6c835e, v45
	s_delay_alu instid0(VALU_DEP_4) | instskip(NEXT) | instid1(VALU_DEP_4)
	v_dual_fmamk_f32 v18, v9, 0x3f3504f3, v46 :: v_dual_mul_f32 v37, 0x3f3504f3, v37
	v_fmac_f32_e32 v15, 0xbf6c835e, v30
	v_fma_f32 v35, v28, 2.0, -v30
	v_fmamk_f32 v19, v33, 0x3f6c835e, v47
	v_mul_f32_e32 v36, 0x3f3504f3, v8
	v_fmac_f32_e32 v18, 0xbf3504f3, v10
	v_fma_f32 v8, v41, 2.0, -v15
	v_dual_mul_f32 v41, 0x3f3504f3, v9 :: v_dual_fmac_f32 v34, 0x3f3504f3, v31
	v_fmac_f32_e32 v6, 0xbec3ef15, v35
	v_fma_f32 v28, v42, 2.0, -v33
	v_mul_f32_e32 v42, 0x3f3504f3, v10
	v_fma_f32 v9, v46, 2.0, -v18
	v_fmac_f32_e32 v19, 0xbec3ef15, v34
	v_fma_f32 v31, v48, 2.0, -v34
	s_delay_alu instid0(VALU_DEP_2)
	v_fma_f32 v10, v47, 2.0, -v19
	s_and_saveexec_b32 s1, s0
	s_cbranch_execz .LBB0_13
; %bb.12:
	v_fma_f32 v48, v14, 2.0, -v47
	v_fma_f32 v7, v7, 2.0, -v46
	v_sub_f32_e32 v14, v43, v39
	v_fma_f32 v45, v45, 2.0, -v6
	v_fma_f32 v44, v44, 2.0, -v5
	s_delay_alu instid0(VALU_DEP_4) | instskip(SKIP_1) | instid1(VALU_DEP_2)
	v_dual_fmamk_f32 v47, v28, 0xbec3ef15, v48 :: v_dual_sub_f32 v46, v7, v36
	v_lshl_add_u32 v50, v0, 6, 0
	v_dual_fmac_f32 v47, 0xbf6c835e, v31 :: v_dual_sub_f32 v46, v46, v37
	s_delay_alu instid0(VALU_DEP_1) | instskip(NEXT) | instid1(VALU_DEP_2)
	v_fma_f32 v49, v48, 2.0, -v47
	v_fma_f32 v48, v7, 2.0, -v46
	;; [unrolled: 1-line block ×3, first 2 shown]
	ds_store_2addr_b64 v50, v[44:45], v[48:49] offset1:1
	ds_store_2addr_b64 v50, v[7:8], v[9:10] offset0:2 offset1:3
	ds_store_2addr_b64 v50, v[5:6], v[46:47] offset0:4 offset1:5
	;; [unrolled: 1-line block ×3, first 2 shown]
.LBB0_13:
	s_wait_alu 0xfffe
	s_or_b32 exec_lo, exec_lo, s1
	v_sub_f32_e32 v7, v11, v17
	v_fma_f32 v17, v27, 2.0, -v39
	v_lshl_add_u32 v27, v0, 2, 0
	v_fma_f32 v13, v13, 2.0, -v38
	v_fma_f32 v14, v12, 2.0, -v22
	global_wb scope:SCOPE_SE
	s_wait_dscnt 0x0
	s_barrier_signal -1
	v_dual_add_f32 v15, v7, v16 :: v_dual_add_nc_u32 v38, 0x400, v27
	v_fma_f32 v16, v11, 2.0, -v7
	s_barrier_wait -1
	global_inv scope:SCOPE_SE
	ds_load_2addr_b32 v[11:12], v27 offset1:160
	v_fma_f32 v18, v7, 2.0, -v15
	v_sub_f32_e32 v19, v16, v13
	ds_load_b32 v7, v27 offset:2560
	s_add_nc_u64 s[2:3], s[14:15], s[2:3]
	v_sub_f32_e32 v13, v18, v24
	v_add_f32_e32 v24, v15, v32
	v_fma_f32 v16, v16, 2.0, -v19
	s_delay_alu instid0(VALU_DEP_2) | instskip(SKIP_4) | instid1(VALU_DEP_3)
	v_dual_add_f32 v45, v21, v13 :: v_dual_add_f32 v44, v23, v24
	ds_load_2addr_b32 v[21:22], v38 offset0:64 offset1:224
	v_dual_add_f32 v43, v19, v20 :: v_dual_sub_f32 v32, v16, v14
	v_fmamk_f32 v20, v30, 0x3ec3ef15, v45
	v_fma_f32 v39, v18, 2.0, -v45
	v_dual_fmamk_f32 v24, v34, 0x3f6c835e, v44 :: v_dual_add_f32 v13, v43, v42
	s_delay_alu instid0(VALU_DEP_4) | instskip(NEXT) | instid1(VALU_DEP_4)
	v_fma_f32 v30, v16, 2.0, -v32
	v_fmac_f32_e32 v20, 0x3f6c835e, v26
	s_delay_alu instid0(VALU_DEP_4) | instskip(NEXT) | instid1(VALU_DEP_4)
	v_fmamk_f32 v14, v35, 0xbf6c835e, v39
	v_fmac_f32_e32 v24, 0x3ec3ef15, v33
	v_add_f32_e32 v23, v41, v13
	v_sub_f32_e32 v13, v30, v17
	v_fma_f32 v16, v45, 2.0, -v20
	v_fmac_f32_e32 v14, 0x3ec3ef15, v29
	v_fma_f32 v18, v44, 2.0, -v24
	v_fma_f32 v17, v43, 2.0, -v23
	global_wb scope:SCOPE_SE
	s_wait_dscnt 0x0
	s_barrier_signal -1
	s_barrier_wait -1
	global_inv scope:SCOPE_SE
	s_and_saveexec_b32 s1, s0
	s_cbranch_execz .LBB0_15
; %bb.14:
	v_fma_f32 v26, v19, 2.0, -v43
	v_fma_f32 v15, v15, 2.0, -v44
	;; [unrolled: 1-line block ×4, first 2 shown]
	s_delay_alu instid0(VALU_DEP_3) | instskip(NEXT) | instid1(VALU_DEP_1)
	v_fmamk_f32 v31, v31, 0xbec3ef15, v15
	v_dual_sub_f32 v19, v26, v37 :: v_dual_fmamk_f32 v34, v28, 0x3f6c835e, v31
	s_delay_alu instid0(VALU_DEP_1) | instskip(SKIP_2) | instid1(VALU_DEP_3)
	v_add_f32_e32 v33, v36, v19
	v_add_f32_e32 v19, v32, v25
	v_mad_u32_u24 v28, v0, 60, v27
	v_fma_f32 v25, v26, 2.0, -v33
	v_fma_f32 v26, v15, 2.0, -v34
	s_delay_alu instid0(VALU_DEP_4)
	v_fma_f32 v15, v32, 2.0, -v19
	ds_store_2addr_b64 v28, v[29:30], v[25:26] offset1:1
	ds_store_2addr_b64 v28, v[15:16], v[17:18] offset0:2 offset1:3
	ds_store_2addr_b64 v28, v[13:14], v[33:34] offset0:4 offset1:5
	;; [unrolled: 1-line block ×3, first 2 shown]
.LBB0_15:
	s_wait_alu 0xfffe
	s_or_b32 exec_lo, exec_lo, s1
	v_and_b32_e32 v15, 15, v0
	s_load_b64 s[2:3], s[2:3], 0x0
	global_wb scope:SCOPE_SE
	s_wait_dscnt 0x0
	s_wait_kmcnt 0x0
	s_barrier_signal -1
	s_barrier_wait -1
	v_lshlrev_b32_e32 v19, 5, v15
	global_inv scope:SCOPE_SE
	v_lshrrev_b32_e32 v23, 4, v0
	v_cmp_gt_u32_e64 s0, 0x50, v0
	s_clause 0x1
	global_load_b128 v[31:34], v19, s[8:9]
	global_load_b128 v[41:44], v19, s[8:9] offset:16
	ds_load_2addr_b32 v[19:20], v27 offset1:160
	ds_load_2addr_b32 v[35:36], v38 offset0:64 offset1:224
	ds_load_b32 v37, v27 offset:2560
	v_mul_u32_u24_e32 v23, 0x50, v23
	global_wb scope:SCOPE_SE
	s_wait_loadcnt_dscnt 0x0
	s_barrier_signal -1
	s_barrier_wait -1
	global_inv scope:SCOPE_SE
	v_mul_f32_e32 v30, v21, v34
	v_mul_f32_e32 v24, v36, v42
	v_or_b32_e32 v15, v23, v15
	v_mul_f32_e32 v23, v35, v34
	v_dual_mul_f32 v29, v22, v42 :: v_dual_mul_f32 v28, v7, v44
	v_mul_f32_e32 v25, v12, v32
	s_delay_alu instid0(VALU_DEP_4) | instskip(SKIP_4) | instid1(VALU_DEP_4)
	v_lshl_add_u32 v26, v15, 2, 0
	v_dual_mul_f32 v15, v20, v32 :: v_dual_fmac_f32 v30, v35, v33
	v_mul_f32_e32 v32, v37, v44
	v_fma_f32 v24, v22, v41, -v24
	v_fmac_f32_e32 v28, v37, v43
	v_fma_f32 v12, v12, v31, -v15
	v_fmac_f32_e32 v25, v20, v31
	v_fma_f32 v15, v21, v33, -v23
	v_fma_f32 v31, v7, v43, -v32
	s_delay_alu instid0(VALU_DEP_4) | instskip(NEXT) | instid1(VALU_DEP_4)
	v_dual_fmac_f32 v29, v36, v41 :: v_dual_add_f32 v20, v11, v12
	v_sub_f32_e32 v23, v25, v28
	s_delay_alu instid0(VALU_DEP_4) | instskip(NEXT) | instid1(VALU_DEP_4)
	v_sub_f32_e32 v34, v15, v12
	v_dual_add_f32 v22, v12, v31 :: v_dual_add_f32 v7, v15, v24
	s_delay_alu instid0(VALU_DEP_4) | instskip(SKIP_1) | instid1(VALU_DEP_3)
	v_dual_sub_f32 v32, v30, v29 :: v_dual_sub_f32 v35, v24, v31
	v_dual_sub_f32 v33, v31, v24 :: v_dual_add_f32 v20, v20, v15
	v_fma_f32 v7, -0.5, v7, v11
	s_delay_alu instid0(VALU_DEP_3) | instskip(NEXT) | instid1(VALU_DEP_3)
	v_dual_fmac_f32 v11, -0.5, v22 :: v_dual_add_f32 v34, v34, v35
	v_add_f32_e32 v20, v20, v24
	s_delay_alu instid0(VALU_DEP_2) | instskip(NEXT) | instid1(VALU_DEP_2)
	v_fmamk_f32 v22, v32, 0xbf737871, v11
	v_dual_fmac_f32 v11, 0x3f737871, v32 :: v_dual_add_f32 v20, v20, v31
	s_delay_alu instid0(VALU_DEP_2) | instskip(SKIP_1) | instid1(VALU_DEP_3)
	v_fmac_f32_e32 v22, 0x3f167918, v23
	v_sub_f32_e32 v21, v12, v15
	v_fmac_f32_e32 v11, 0xbf167918, v23
	s_delay_alu instid0(VALU_DEP_2) | instskip(SKIP_2) | instid1(VALU_DEP_4)
	v_dual_fmac_f32 v22, 0x3e9e377a, v34 :: v_dual_add_f32 v33, v21, v33
	v_fmamk_f32 v21, v23, 0x3f737871, v7
	v_fmac_f32_e32 v7, 0xbf737871, v23
	v_fmac_f32_e32 v11, 0x3e9e377a, v34
	s_delay_alu instid0(VALU_DEP_3) | instskip(NEXT) | instid1(VALU_DEP_3)
	v_fmac_f32_e32 v21, 0x3f167918, v32
	v_fmac_f32_e32 v7, 0xbf167918, v32
	s_delay_alu instid0(VALU_DEP_2) | instskip(NEXT) | instid1(VALU_DEP_2)
	v_fmac_f32_e32 v21, 0x3e9e377a, v33
	v_fmac_f32_e32 v7, 0x3e9e377a, v33
	ds_store_2addr_b32 v26, v20, v21 offset1:16
	ds_store_2addr_b32 v26, v22, v11 offset0:32 offset1:48
	ds_store_b32 v26, v7 offset:256
	global_wb scope:SCOPE_SE
	s_wait_dscnt 0x0
	s_barrier_signal -1
	s_barrier_wait -1
	global_inv scope:SCOPE_SE
	s_and_saveexec_b32 s1, s0
	s_cbranch_execz .LBB0_17
; %bb.16:
	v_add_nc_u32_e32 v5, 0x400, v27
	ds_load_2addr_b32 v[22:23], v27 offset0:160 offset1:240
	v_add_nc_u32_e32 v6, 0x600, v27
	v_add_nc_u32_e32 v11, 0x800, v27
	ds_load_2addr_b32 v[20:21], v27 offset1:80
	ds_load_2addr_b32 v[7:8], v5 offset0:64 offset1:144
	ds_load_2addr_b32 v[9:10], v6 offset0:96 offset1:176
	;; [unrolled: 1-line block ×3, first 2 shown]
	s_wait_dscnt 0x4
	v_mov_b32_e32 v11, v23
.LBB0_17:
	s_wait_alu 0xfffe
	s_or_b32 exec_lo, exec_lo, s1
	v_dual_add_f32 v23, v30, v29 :: v_dual_sub_f32 v12, v12, v31
	v_add_f32_e32 v32, v19, v25
	v_sub_f32_e32 v31, v15, v24
	v_dual_add_f32 v24, v25, v28 :: v_dual_sub_f32 v33, v28, v29
	s_delay_alu instid0(VALU_DEP_4) | instskip(SKIP_1) | instid1(VALU_DEP_3)
	v_fma_f32 v15, -0.5, v23, v19
	v_sub_f32_e32 v23, v25, v30
	v_dual_add_f32 v32, v32, v30 :: v_dual_fmac_f32 v19, -0.5, v24
	v_sub_f32_e32 v30, v30, v25
	s_delay_alu instid0(VALU_DEP_4) | instskip(NEXT) | instid1(VALU_DEP_3)
	v_fmamk_f32 v24, v12, 0xbf737871, v15
	v_dual_fmac_f32 v15, 0x3f737871, v12 :: v_dual_add_f32 v32, v32, v29
	s_delay_alu instid0(VALU_DEP_4)
	v_fmamk_f32 v25, v31, 0x3f737871, v19
	v_sub_f32_e32 v29, v29, v28
	v_fmac_f32_e32 v19, 0xbf737871, v31
	v_dual_fmac_f32 v24, 0xbf167918, v31 :: v_dual_add_f32 v33, v23, v33
	v_fmac_f32_e32 v15, 0x3f167918, v31
	v_fmac_f32_e32 v25, 0xbf167918, v12
	v_add_f32_e32 v29, v30, v29
	v_fmac_f32_e32 v19, 0x3f167918, v12
	v_dual_add_f32 v23, v32, v28 :: v_dual_fmac_f32 v24, 0x3e9e377a, v33
	v_fmac_f32_e32 v15, 0x3e9e377a, v33
	s_delay_alu instid0(VALU_DEP_4) | instskip(NEXT) | instid1(VALU_DEP_4)
	v_fmac_f32_e32 v25, 0x3e9e377a, v29
	v_fmac_f32_e32 v19, 0x3e9e377a, v29
	global_wb scope:SCOPE_SE
	s_wait_dscnt 0x0
	s_barrier_signal -1
	s_barrier_wait -1
	global_inv scope:SCOPE_SE
	ds_store_2addr_b32 v26, v23, v24 offset1:16
	ds_store_2addr_b32 v26, v25, v19 offset0:32 offset1:48
	ds_store_b32 v26, v15 offset:256
	global_wb scope:SCOPE_SE
	s_wait_dscnt 0x0
	s_barrier_signal -1
	s_barrier_wait -1
	global_inv scope:SCOPE_SE
	s_and_saveexec_b32 s1, s0
	s_cbranch_execnz .LBB0_20
; %bb.18:
	s_wait_alu 0xfffe
	s_or_b32 exec_lo, exec_lo, s1
	s_and_b32 s0, vcc_lo, s0
	s_wait_alu 0xfffe
	s_and_saveexec_b32 s1, s0
	s_cbranch_execnz .LBB0_21
.LBB0_19:
	s_endpgm
.LBB0_20:
	ds_load_2addr_b32 v[25:26], v27 offset0:160 offset1:240
	v_add_nc_u32_e32 v12, 0x400, v27
	v_add_nc_u32_e32 v13, 0x600, v27
	s_wait_dscnt 0x0
	v_dual_mov_b32 v19, v26 :: v_dual_add_nc_u32 v14, 0x800, v27
	ds_load_2addr_b32 v[23:24], v27 offset1:80
	ds_load_2addr_b32 v[15:16], v12 offset0:64 offset1:144
	ds_load_2addr_b32 v[17:18], v13 offset0:96 offset1:176
	;; [unrolled: 1-line block ×3, first 2 shown]
	s_wait_alu 0xfffe
	s_or_b32 exec_lo, exec_lo, s1
	s_and_b32 s0, vcc_lo, s0
	s_wait_alu 0xfffe
	s_and_saveexec_b32 s1, s0
	s_cbranch_execz .LBB0_19
.LBB0_21:
	v_mul_u32_u24_e32 v12, 9, v0
	v_mul_lo_u32 v63, s2, v4
	v_mad_co_u64_u32 v[45:46], null, s16, v0, 0
	v_mad_co_u64_u32 v[47:48], null, s16, v40, 0
	s_delay_alu instid0(VALU_DEP_4)
	v_lshlrev_b32_e32 v12, 3, v12
	v_add_nc_u32_e32 v69, 0xa0, v0
	v_add_nc_u32_e32 v71, 0x140, v0
	v_or_b32_e32 v74, 0x280, v0
	s_clause 0x4
	global_load_b128 v[26:29], v12, s[8:9] offset:512
	global_load_b128 v[30:33], v12, s[8:9] offset:528
	global_load_b128 v[34:37], v12, s[8:9] offset:560
	global_load_b128 v[41:44], v12, s[8:9] offset:544
	global_load_b64 v[38:39], v12, s[8:9] offset:576
	v_mul_lo_u32 v12, s3, v3
	v_mad_co_u64_u32 v[3:4], null, s2, v3, 0
	v_add_nc_u32_e32 v68, 0x50, v0
	v_add_nc_u32_e32 v70, 0xf0, v0
	;; [unrolled: 1-line block ×3, first 2 shown]
	v_mad_co_u64_u32 v[61:62], null, s16, v74, 0
	s_delay_alu instid0(VALU_DEP_4)
	v_mad_co_u64_u32 v[49:50], null, s16, v68, 0
	v_add_nc_u32_e32 v73, 0x230, v0
	v_add3_u32 v4, v4, v63, v12
	v_mov_b32_e32 v12, v46
	v_mad_co_u64_u32 v[51:52], null, s16, v69, 0
	v_mad_co_u64_u32 v[53:54], null, s16, v70, 0
	v_mov_b32_e32 v46, v48
	v_mad_co_u64_u32 v[55:56], null, s16, v71, 0
	v_mad_co_u64_u32 v[57:58], null, s16, v72, 0
	v_add_nc_u32_e32 v75, 0x2d0, v0
	s_wait_dscnt 0x0
	v_mad_co_u64_u32 v[65:66], null, s17, v0, v[12:13]
	v_mov_b32_e32 v12, v52
	v_mov_b32_e32 v0, v50
	v_mad_co_u64_u32 v[59:60], null, s16, v73, 0
	v_lshlrev_b64_e32 v[1:2], 3, v[1:2]
	v_mov_b32_e32 v48, v54
	v_mov_b32_e32 v50, v56
	v_mad_co_u64_u32 v[66:67], null, s17, v40, v[46:47]
	v_mov_b32_e32 v40, v58
	v_mov_b32_e32 v46, v60
	v_mad_co_u64_u32 v[67:68], null, s17, v68, v[0:1]
	v_mad_co_u64_u32 v[63:64], null, s16, v75, 0
	v_mov_b32_e32 v52, v62
	v_mad_co_u64_u32 v[68:69], null, s17, v69, v[12:13]
	v_mad_co_u64_u32 v[69:70], null, s17, v70, v[48:49]
	;; [unrolled: 1-line block ×3, first 2 shown]
	v_mov_b32_e32 v48, v66
	v_lshlrev_b64_e32 v[3:4], 3, v[3:4]
	v_mov_b32_e32 v0, v64
	v_mov_b32_e32 v50, v67
	s_wait_loadcnt 0x4
	v_mul_f32_e32 v66, v24, v27
	v_dual_mul_f32 v27, v21, v27 :: v_dual_mov_b32 v56, v70
	s_wait_loadcnt 0x1
	v_mad_co_u64_u32 v[71:72], null, s17, v72, v[40:41]
	v_mad_co_u64_u32 v[72:73], null, s17, v73, v[46:47]
	s_delay_alu instid0(VALU_DEP_3)
	v_fmac_f32_e32 v27, v24, v26
	v_mad_co_u64_u32 v[73:74], null, s17, v74, v[52:53]
	v_mad_co_u64_u32 v[74:75], null, s17, v75, v[0:1]
	v_add_co_u32 v0, vcc_lo, s6, v3
	v_mov_b32_e32 v46, v65
	v_mov_b32_e32 v58, v71
	v_dual_mov_b32 v62, v73 :: v_dual_mul_f32 v65, v18, v35
	v_dual_mul_f32 v35, v10, v35 :: v_dual_mov_b32 v54, v69
	s_wait_alu 0xfffd
	v_add_co_ci_u32_e32 v3, vcc_lo, s7, v4, vcc_lo
	v_add_co_u32 v4, vcc_lo, v0, v1
	s_delay_alu instid0(VALU_DEP_3)
	v_fmac_f32_e32 v35, v18, v34
	v_lshlrev_b64_e32 v[0:1], 3, v[45:46]
	v_lshlrev_b64_e32 v[45:46], 3, v[49:50]
	;; [unrolled: 1-line block ×5, first 2 shown]
	v_mul_f32_e32 v61, v17, v43
	s_wait_alu 0xfffd
	v_add_co_ci_u32_e32 v12, vcc_lo, v3, v2, vcc_lo
	v_mul_f32_e32 v62, v19, v31
	v_mul_f32_e32 v31, v11, v31
	v_fmac_f32_e32 v61, v9, v44
	v_lshlrev_b64_e32 v[2:3], 3, v[47:48]
	v_mov_b32_e32 v52, v68
	v_add_co_u32 v0, vcc_lo, v4, v0
	v_fmac_f32_e32 v31, v19, v30
	s_wait_alu 0xfffd
	v_add_co_ci_u32_e32 v1, vcc_lo, v12, v1, vcc_lo
	v_lshlrev_b64_e32 v[47:48], 3, v[51:52]
	v_add_co_u32 v2, vcc_lo, v4, v2
	s_wait_alu 0xfffd
	v_add_co_ci_u32_e32 v3, vcc_lo, v12, v3, vcc_lo
	v_mul_f32_e32 v17, v17, v44
	v_add_co_u32 v45, vcc_lo, v4, v45
	s_wait_alu 0xfffd
	v_add_co_ci_u32_e32 v46, vcc_lo, v12, v46, vcc_lo
	v_lshlrev_b64_e32 v[51:52], 3, v[55:56]
	v_add_co_u32 v47, vcc_lo, v4, v47
	v_fma_f32 v9, v9, v43, -v17
	v_mov_b32_e32 v60, v72
	s_wait_alu 0xfffd
	v_add_co_ci_u32_e32 v48, vcc_lo, v12, v48, vcc_lo
	v_add_co_u32 v49, vcc_lo, v4, v49
	v_mov_b32_e32 v64, v74
	s_wait_alu 0xfffd
	v_add_co_ci_u32_e32 v50, vcc_lo, v12, v50, vcc_lo
	v_lshlrev_b64_e32 v[55:56], 3, v[59:60]
	v_add_co_u32 v51, vcc_lo, v4, v51
	s_wait_alu 0xfffd
	v_add_co_ci_u32_e32 v52, vcc_lo, v12, v52, vcc_lo
	v_add_co_u32 v53, vcc_lo, v4, v53
	v_lshlrev_b64_e32 v[59:60], 3, v[63:64]
	s_wait_loadcnt 0x0
	v_mul_f32_e32 v64, v14, v39
	v_mul_f32_e32 v39, v6, v39
	s_wait_alu 0xfffd
	v_add_co_ci_u32_e32 v54, vcc_lo, v12, v54, vcc_lo
	v_add_co_u32 v55, vcc_lo, v4, v55
	s_wait_alu 0xfffd
	v_add_co_ci_u32_e32 v56, vcc_lo, v12, v56, vcc_lo
	v_add_co_u32 v57, vcc_lo, v4, v57
	v_mul_f32_e32 v63, v16, v42
	v_fmac_f32_e32 v39, v14, v38
	v_mul_f32_e32 v42, v8, v42
	s_wait_alu 0xfffd
	v_add_co_ci_u32_e32 v58, vcc_lo, v12, v58, vcc_lo
	v_add_co_u32 v59, vcc_lo, v4, v59
	s_wait_alu 0xfffd
	v_add_co_ci_u32_e32 v60, vcc_lo, v12, v60, vcc_lo
	v_mul_f32_e32 v4, v25, v28
	v_mul_f32_e32 v25, v25, v29
	v_fma_f32 v8, v8, v41, -v63
	v_fma_f32 v6, v6, v38, -v64
	;; [unrolled: 1-line block ×3, first 2 shown]
	v_dual_mul_f32 v40, v13, v36 :: v_dual_add_f32 v63, v31, v39
	v_fmac_f32_e32 v42, v16, v41
	v_mul_f32_e32 v12, v15, v32
	v_mul_f32_e32 v15, v15, v33
	;; [unrolled: 1-line block ×3, first 2 shown]
	v_fmac_f32_e32 v4, v22, v29
	s_delay_alu instid0(VALU_DEP_4) | instskip(NEXT) | instid1(VALU_DEP_4)
	v_dual_sub_f32 v41, v10, v6 :: v_dual_fmac_f32 v12, v7, v33
	v_fma_f32 v7, v7, v32, -v15
	v_fma_f32 v15, v22, v28, -v25
	v_fmac_f32_e32 v40, v5, v37
	v_fma_f32 v5, v5, v36, -v13
	v_sub_f32_e32 v25, v31, v39
	v_sub_f32_e32 v17, v7, v9
	;; [unrolled: 1-line block ×6, first 2 shown]
	v_add_f32_e32 v31, v31, v27
	v_add_f32_e32 v37, v4, v40
	v_fma_f32 v11, v11, v30, -v62
	v_dual_sub_f32 v22, v6, v10 :: v_dual_add_f32 v71, v15, v5
	v_sub_f32_e32 v29, v39, v35
	v_add_f32_e32 v33, v42, v35
	s_delay_alu instid0(VALU_DEP_4)
	v_sub_f32_e32 v38, v8, v11
	v_add_f32_e32 v24, v8, v10
	v_sub_f32_e32 v62, v35, v39
	v_sub_f32_e32 v18, v15, v5
	v_add_f32_e32 v67, v7, v9
	v_fma_f32 v13, v21, v26, -v66
	v_dual_sub_f32 v21, v11, v8 :: v_dual_sub_f32 v16, v40, v61
	v_add_f32_e32 v15, v20, v15
	v_sub_f32_e32 v14, v4, v12
	v_add_f32_e32 v19, v12, v61
	v_sub_f32_e32 v30, v8, v10
	v_sub_f32_e32 v32, v11, v6
	v_add_f32_e32 v43, v11, v6
	v_add_f32_e32 v11, v11, v13
	;; [unrolled: 1-line block ×3, first 2 shown]
	v_dual_add_f32 v7, v15, v7 :: v_dual_add_f32 v14, v14, v16
	v_fma_f32 v16, -0.5, v19, v23
	v_dual_add_f32 v19, v21, v22 :: v_dual_add_f32 v22, v28, v29
	v_add_f32_e32 v29, v38, v41
	v_fma_f32 v21, -0.5, v24, v13
	v_sub_f32_e32 v34, v12, v4
	v_fma_f32 v24, -0.5, v33, v27
	v_fma_f32 v27, -0.5, v63, v27
	v_sub_f32_e32 v36, v61, v40
	v_fma_f32 v13, -0.5, v43, v13
	v_dual_sub_f32 v66, v5, v9 :: v_dual_add_f32 v31, v35, v31
	s_delay_alu instid0(VALU_DEP_4)
	v_fmamk_f32 v43, v30, 0xbf737871, v27
	v_dual_fmac_f32 v27, 0x3f737871, v30 :: v_dual_add_f32 v8, v8, v11
	v_dual_fmamk_f32 v11, v25, 0xbf737871, v21 :: v_dual_add_f32 v28, v34, v36
	v_fma_f32 v36, -0.5, v67, v20
	v_sub_f32_e32 v70, v9, v5
	v_sub_f32_e32 v26, v42, v35
	v_add_f32_e32 v64, v23, v4
	v_dual_sub_f32 v4, v4, v40 :: v_dual_fmac_f32 v21, 0x3f737871, v25
	v_fma_f32 v23, -0.5, v37, v23
	v_add_f32_e32 v7, v7, v9
	v_fma_f32 v20, -0.5, v71, v20
	s_delay_alu instid0(VALU_DEP_4)
	v_fmamk_f32 v35, v4, 0xbf737871, v36
	v_dual_add_f32 v37, v69, v70 :: v_dual_sub_f32 v68, v12, v61
	v_fmac_f32_e32 v11, 0xbf167918, v26
	v_fmamk_f32 v41, v17, 0xbf737871, v23
	v_fmamk_f32 v42, v26, 0x3f737871, v13
	v_fmac_f32_e32 v23, 0x3f737871, v17
	v_add_f32_e32 v33, v44, v62
	v_fmamk_f32 v15, v18, 0x3f737871, v16
	v_dual_fmac_f32 v13, 0xbf737871, v26 :: v_dual_add_f32 v12, v64, v12
	s_delay_alu instid0(VALU_DEP_4) | instskip(SKIP_1) | instid1(VALU_DEP_4)
	v_fmac_f32_e32 v23, 0xbf167918, v18
	v_fmac_f32_e32 v27, 0xbf167918, v32
	v_dual_fmac_f32 v15, 0x3f167918, v17 :: v_dual_add_f32 v8, v10, v8
	s_delay_alu instid0(VALU_DEP_4) | instskip(SKIP_1) | instid1(VALU_DEP_3)
	v_fmac_f32_e32 v13, 0x3f167918, v25
	v_dual_add_f32 v12, v12, v61 :: v_dual_fmac_f32 v21, 0x3f167918, v26
	v_dual_add_f32 v10, v39, v31 :: v_dual_fmac_f32 v15, 0x3e9e377a, v14
	v_fmac_f32_e32 v41, 0x3f167918, v18
	s_delay_alu instid0(VALU_DEP_3) | instskip(SKIP_2) | instid1(VALU_DEP_4)
	v_add_f32_e32 v9, v40, v12
	v_fmamk_f32 v38, v32, 0x3f737871, v24
	v_fmac_f32_e32 v24, 0xbf737871, v32
	v_dual_add_f32 v12, v5, v7 :: v_dual_fmac_f32 v41, 0x3e9e377a, v28
	s_delay_alu instid0(VALU_DEP_4) | instskip(SKIP_1) | instid1(VALU_DEP_4)
	v_add_f32_e32 v7, v9, v10
	v_dual_add_f32 v34, v65, v66 :: v_dual_fmac_f32 v43, 0x3f167918, v32
	v_fmac_f32_e32 v24, 0xbf167918, v30
	v_fmac_f32_e32 v13, 0x3e9e377a, v29
	v_dual_sub_f32 v5, v9, v10 :: v_dual_fmac_f32 v42, 0xbf167918, v25
	v_fmac_f32_e32 v35, 0xbf167918, v68
	s_delay_alu instid0(VALU_DEP_4)
	v_fmac_f32_e32 v24, 0x3e9e377a, v22
	v_fmac_f32_e32 v38, 0x3f167918, v30
	;; [unrolled: 1-line block ×3, first 2 shown]
	v_dual_fmac_f32 v27, 0x3e9e377a, v33 :: v_dual_add_f32 v6, v6, v8
	v_fmac_f32_e32 v11, 0x3e9e377a, v19
	v_mul_f32_e32 v25, 0x3f167918, v24
	v_fmac_f32_e32 v38, 0x3e9e377a, v22
	v_dual_fmac_f32 v42, 0x3e9e377a, v29 :: v_dual_fmac_f32 v23, 0x3e9e377a, v28
	v_mul_f32_e32 v10, 0xbf737871, v13
	v_mul_f32_e32 v22, 0x3f737871, v27
	s_delay_alu instid0(VALU_DEP_4) | instskip(SKIP_4) | instid1(VALU_DEP_4)
	v_mul_f32_e32 v8, 0x3f4f1bbd, v38
	v_mul_f32_e32 v9, 0x3e9e377a, v43
	v_fmac_f32_e32 v21, 0x3e9e377a, v19
	v_fmac_f32_e32 v10, 0x3e9e377a, v27
	;; [unrolled: 1-line block ×3, first 2 shown]
	v_fma_f32 v19, 0xbf737871, v42, -v9
	v_fmac_f32_e32 v16, 0xbf737871, v18
	v_fma_f32 v18, 0xbf167918, v11, -v8
	v_fmamk_f32 v44, v68, 0x3f737871, v20
	v_dual_fmac_f32 v20, 0xbf737871, v68 :: v_dual_sub_f32 v9, v23, v10
	s_delay_alu instid0(VALU_DEP_3) | instskip(NEXT) | instid1(VALU_DEP_3)
	v_dual_fmac_f32 v36, 0x3f737871, v4 :: v_dual_add_f32 v13, v15, v18
	v_fmac_f32_e32 v44, 0xbf167918, v4
	s_delay_alu instid0(VALU_DEP_3)
	v_fmac_f32_e32 v20, 0x3f167918, v4
	v_sub_f32_e32 v4, v12, v6
	v_add_f32_e32 v6, v12, v6
	v_mul_f32_e32 v12, 0xbf167918, v21
	v_fmac_f32_e32 v36, 0x3f167918, v68
	v_dual_fmac_f32 v35, 0x3e9e377a, v34 :: v_dual_fmac_f32 v20, 0x3e9e377a, v37
	global_store_b64 v[0:1], v[6:7], off
	v_dual_sub_f32 v7, v41, v19 :: v_dual_fmac_f32 v16, 0xbf167918, v17
	v_sub_f32_e32 v1, v15, v18
	v_dual_add_f32 v15, v41, v19 :: v_dual_fmac_f32 v12, 0x3f4f1bbd, v24
	v_sub_f32_e32 v8, v20, v22
	s_delay_alu instid0(VALU_DEP_4) | instskip(SKIP_1) | instid1(VALU_DEP_2)
	v_fmac_f32_e32 v16, 0x3e9e377a, v14
	v_mul_f32_e32 v14, 0x3f4f1bbd, v11
	v_dual_fmac_f32 v36, 0x3e9e377a, v34 :: v_dual_add_f32 v19, v16, v12
	s_delay_alu instid0(VALU_DEP_2) | instskip(SKIP_3) | instid1(VALU_DEP_4)
	v_fma_f32 v24, 0x3f167918, v38, -v14
	v_mul_f32_e32 v17, 0x3e9e377a, v42
	v_sub_f32_e32 v11, v16, v12
	v_add_f32_e32 v16, v20, v22
	v_sub_f32_e32 v0, v35, v24
	s_delay_alu instid0(VALU_DEP_4) | instskip(SKIP_2) | instid1(VALU_DEP_2)
	v_fma_f32 v14, 0x3f737871, v43, -v17
	v_dual_add_f32 v17, v23, v10 :: v_dual_fmac_f32 v44, 0x3e9e377a, v37
	v_dual_fmac_f32 v25, 0x3f4f1bbd, v21 :: v_dual_add_f32 v12, v35, v24
	v_sub_f32_e32 v6, v44, v14
	s_delay_alu instid0(VALU_DEP_2)
	v_add_f32_e32 v18, v36, v25
	v_add_f32_e32 v14, v44, v14
	v_sub_f32_e32 v10, v36, v25
	s_clause 0x8
	global_store_b64 v[45:46], v[18:19], off
	global_store_b64 v[47:48], v[16:17], off
	;; [unrolled: 1-line block ×9, first 2 shown]
	s_nop 0
	s_sendmsg sendmsg(MSG_DEALLOC_VGPRS)
	s_endpgm
	.section	.rodata,"a",@progbits
	.p2align	6, 0x0
	.amdhsa_kernel fft_rtc_fwd_len800_factors_16_5_10_wgs_160_tpt_160_halfLds_sp_op_CI_CI_sbrr_dirReg
		.amdhsa_group_segment_fixed_size 0
		.amdhsa_private_segment_fixed_size 0
		.amdhsa_kernarg_size 104
		.amdhsa_user_sgpr_count 2
		.amdhsa_user_sgpr_dispatch_ptr 0
		.amdhsa_user_sgpr_queue_ptr 0
		.amdhsa_user_sgpr_kernarg_segment_ptr 1
		.amdhsa_user_sgpr_dispatch_id 0
		.amdhsa_user_sgpr_private_segment_size 0
		.amdhsa_wavefront_size32 1
		.amdhsa_uses_dynamic_stack 0
		.amdhsa_enable_private_segment 0
		.amdhsa_system_sgpr_workgroup_id_x 1
		.amdhsa_system_sgpr_workgroup_id_y 0
		.amdhsa_system_sgpr_workgroup_id_z 0
		.amdhsa_system_sgpr_workgroup_info 0
		.amdhsa_system_vgpr_workitem_id 0
		.amdhsa_next_free_vgpr 76
		.amdhsa_next_free_sgpr 43
		.amdhsa_reserve_vcc 1
		.amdhsa_float_round_mode_32 0
		.amdhsa_float_round_mode_16_64 0
		.amdhsa_float_denorm_mode_32 3
		.amdhsa_float_denorm_mode_16_64 3
		.amdhsa_fp16_overflow 0
		.amdhsa_workgroup_processor_mode 1
		.amdhsa_memory_ordered 1
		.amdhsa_forward_progress 0
		.amdhsa_round_robin_scheduling 0
		.amdhsa_exception_fp_ieee_invalid_op 0
		.amdhsa_exception_fp_denorm_src 0
		.amdhsa_exception_fp_ieee_div_zero 0
		.amdhsa_exception_fp_ieee_overflow 0
		.amdhsa_exception_fp_ieee_underflow 0
		.amdhsa_exception_fp_ieee_inexact 0
		.amdhsa_exception_int_div_zero 0
	.end_amdhsa_kernel
	.text
.Lfunc_end0:
	.size	fft_rtc_fwd_len800_factors_16_5_10_wgs_160_tpt_160_halfLds_sp_op_CI_CI_sbrr_dirReg, .Lfunc_end0-fft_rtc_fwd_len800_factors_16_5_10_wgs_160_tpt_160_halfLds_sp_op_CI_CI_sbrr_dirReg
                                        ; -- End function
	.section	.AMDGPU.csdata,"",@progbits
; Kernel info:
; codeLenInByte = 6928
; NumSgprs: 45
; NumVgprs: 76
; ScratchSize: 0
; MemoryBound: 0
; FloatMode: 240
; IeeeMode: 1
; LDSByteSize: 0 bytes/workgroup (compile time only)
; SGPRBlocks: 5
; VGPRBlocks: 9
; NumSGPRsForWavesPerEU: 45
; NumVGPRsForWavesPerEU: 76
; Occupancy: 15
; WaveLimiterHint : 1
; COMPUTE_PGM_RSRC2:SCRATCH_EN: 0
; COMPUTE_PGM_RSRC2:USER_SGPR: 2
; COMPUTE_PGM_RSRC2:TRAP_HANDLER: 0
; COMPUTE_PGM_RSRC2:TGID_X_EN: 1
; COMPUTE_PGM_RSRC2:TGID_Y_EN: 0
; COMPUTE_PGM_RSRC2:TGID_Z_EN: 0
; COMPUTE_PGM_RSRC2:TIDIG_COMP_CNT: 0
	.text
	.p2alignl 7, 3214868480
	.fill 96, 4, 3214868480
	.type	__hip_cuid_b6e1e42838582556,@object ; @__hip_cuid_b6e1e42838582556
	.section	.bss,"aw",@nobits
	.globl	__hip_cuid_b6e1e42838582556
__hip_cuid_b6e1e42838582556:
	.byte	0                               ; 0x0
	.size	__hip_cuid_b6e1e42838582556, 1

	.ident	"AMD clang version 19.0.0git (https://github.com/RadeonOpenCompute/llvm-project roc-6.4.0 25133 c7fe45cf4b819c5991fe208aaa96edf142730f1d)"
	.section	".note.GNU-stack","",@progbits
	.addrsig
	.addrsig_sym __hip_cuid_b6e1e42838582556
	.amdgpu_metadata
---
amdhsa.kernels:
  - .args:
      - .actual_access:  read_only
        .address_space:  global
        .offset:         0
        .size:           8
        .value_kind:     global_buffer
      - .offset:         8
        .size:           8
        .value_kind:     by_value
      - .actual_access:  read_only
        .address_space:  global
        .offset:         16
        .size:           8
        .value_kind:     global_buffer
      - .actual_access:  read_only
        .address_space:  global
        .offset:         24
        .size:           8
        .value_kind:     global_buffer
      - .actual_access:  read_only
        .address_space:  global
        .offset:         32
        .size:           8
        .value_kind:     global_buffer
      - .offset:         40
        .size:           8
        .value_kind:     by_value
      - .actual_access:  read_only
        .address_space:  global
        .offset:         48
        .size:           8
        .value_kind:     global_buffer
      - .actual_access:  read_only
        .address_space:  global
        .offset:         56
        .size:           8
        .value_kind:     global_buffer
      - .offset:         64
        .size:           4
        .value_kind:     by_value
      - .actual_access:  read_only
        .address_space:  global
        .offset:         72
        .size:           8
        .value_kind:     global_buffer
      - .actual_access:  read_only
        .address_space:  global
        .offset:         80
        .size:           8
        .value_kind:     global_buffer
      - .actual_access:  read_only
        .address_space:  global
        .offset:         88
        .size:           8
        .value_kind:     global_buffer
      - .actual_access:  write_only
        .address_space:  global
        .offset:         96
        .size:           8
        .value_kind:     global_buffer
    .group_segment_fixed_size: 0
    .kernarg_segment_align: 8
    .kernarg_segment_size: 104
    .language:       OpenCL C
    .language_version:
      - 2
      - 0
    .max_flat_workgroup_size: 160
    .name:           fft_rtc_fwd_len800_factors_16_5_10_wgs_160_tpt_160_halfLds_sp_op_CI_CI_sbrr_dirReg
    .private_segment_fixed_size: 0
    .sgpr_count:     45
    .sgpr_spill_count: 0
    .symbol:         fft_rtc_fwd_len800_factors_16_5_10_wgs_160_tpt_160_halfLds_sp_op_CI_CI_sbrr_dirReg.kd
    .uniform_work_group_size: 1
    .uses_dynamic_stack: false
    .vgpr_count:     76
    .vgpr_spill_count: 0
    .wavefront_size: 32
    .workgroup_processor_mode: 1
amdhsa.target:   amdgcn-amd-amdhsa--gfx1201
amdhsa.version:
  - 1
  - 2
...

	.end_amdgpu_metadata
